;; amdgpu-corpus repo=ROCm/rocFFT kind=compiled arch=gfx906 opt=O3
	.text
	.amdgcn_target "amdgcn-amd-amdhsa--gfx906"
	.amdhsa_code_object_version 6
	.protected	fft_rtc_fwd_len240_factors_8_5_6_wgs_384_tpt_48_sp_ip_CI_sbcc_twdbase5_3step_dirReg_intrinsicReadWrite ; -- Begin function fft_rtc_fwd_len240_factors_8_5_6_wgs_384_tpt_48_sp_ip_CI_sbcc_twdbase5_3step_dirReg_intrinsicReadWrite
	.globl	fft_rtc_fwd_len240_factors_8_5_6_wgs_384_tpt_48_sp_ip_CI_sbcc_twdbase5_3step_dirReg_intrinsicReadWrite
	.p2align	8
	.type	fft_rtc_fwd_len240_factors_8_5_6_wgs_384_tpt_48_sp_ip_CI_sbcc_twdbase5_3step_dirReg_intrinsicReadWrite,@function
fft_rtc_fwd_len240_factors_8_5_6_wgs_384_tpt_48_sp_ip_CI_sbcc_twdbase5_3step_dirReg_intrinsicReadWrite: ; @fft_rtc_fwd_len240_factors_8_5_6_wgs_384_tpt_48_sp_ip_CI_sbcc_twdbase5_3step_dirReg_intrinsicReadWrite
; %bb.0:
	s_load_dwordx8 s[8:15], s[4:5], 0x8
	s_movk_i32 s0, 0x60
	v_cmp_gt_u32_e32 vcc, s0, v0
	s_and_saveexec_b64 s[0:1], vcc
	s_cbranch_execz .LBB0_2
; %bb.1:
	v_lshlrev_b32_e32 v3, 3, v0
	s_waitcnt lgkmcnt(0)
	global_load_dwordx2 v[1:2], v3, s[8:9]
	v_add_u32_e32 v3, 0, v3
	s_waitcnt vmcnt(0)
	ds_write_b64 v3, v[1:2] offset:15360
.LBB0_2:
	s_or_b64 exec, exec, s[0:1]
	s_waitcnt lgkmcnt(0)
	s_load_dwordx2 s[22:23], s[12:13], 0x8
	s_mov_b32 s7, 0
	s_mov_b64 s[24:25], 0
	s_waitcnt lgkmcnt(0)
	s_add_u32 s0, s22, -1
	s_addc_u32 s1, s23, -1
	s_lshr_b64 s[0:1], s[0:1], 3
	s_add_u32 s2, s0, 1
	s_addc_u32 s3, s1, 0
	v_mov_b32_e32 v1, s2
	v_mov_b32_e32 v2, s3
	v_cmp_lt_u64_e32 vcc, s[6:7], v[1:2]
	s_cbranch_vccnz .LBB0_4
; %bb.3:
	v_cvt_f32_u32_e32 v1, s2
	s_sub_i32 s0, 0, s2
	s_mov_b32 s25, s7
	v_rcp_iflag_f32_e32 v1, v1
	v_mul_f32_e32 v1, 0x4f7ffffe, v1
	v_cvt_u32_f32_e32 v1, v1
	v_readfirstlane_b32 s1, v1
	s_mul_i32 s0, s0, s1
	s_mul_hi_u32 s0, s1, s0
	s_add_i32 s1, s1, s0
	s_mul_hi_u32 s0, s6, s1
	s_mul_i32 s8, s0, s2
	s_sub_i32 s8, s6, s8
	s_add_i32 s1, s0, 1
	s_sub_i32 s9, s8, s2
	s_cmp_ge_u32 s8, s2
	s_cselect_b32 s0, s1, s0
	s_cselect_b32 s8, s9, s8
	s_add_i32 s1, s0, 1
	s_cmp_ge_u32 s8, s2
	s_cselect_b32 s24, s1, s0
.LBB0_4:
	s_load_dwordx4 s[16:19], s[14:15], 0x0
	s_mul_i32 s0, s24, s3
	s_mul_hi_u32 s1, s24, s2
	s_add_i32 s1, s1, s0
	s_mul_i32 s0, s24, s2
	s_sub_u32 s0, s6, s0
	s_subb_u32 s1, 0, s1
	v_mov_b32_e32 v1, s0
	v_alignbit_b32 v1, s1, v1, 29
	s_waitcnt lgkmcnt(0)
	v_mul_lo_u32 v1, s18, v1
	s_load_dwordx2 s[8:9], s[4:5], 0x58
	s_load_dwordx2 s[20:21], s[4:5], 0x0
	s_lshl_b64 s[4:5], s[0:1], 3
	s_mul_hi_u32 s0, s18, s4
	v_add_u32_e32 v1, s0, v1
	s_mul_i32 s0, s19, s4
	v_add_u32_e32 v4, s0, v1
	v_cmp_lt_u64_e64 s[0:1], s[10:11], 3
	s_mul_i32 s17, s18, s4
	v_mov_b32_e32 v3, s17
	s_and_b64 vcc, exec, s[0:1]
	s_cbranch_vccnz .LBB0_11
; %bb.5:
	s_add_u32 s26, s14, 16
	s_addc_u32 s27, s15, 0
	s_add_u32 s12, s12, 16
	v_mov_b32_e32 v1, s10
	s_addc_u32 s13, s13, 0
	s_mov_b64 s[28:29], 2
	s_mov_b32 s30, 0
	v_mov_b32_e32 v2, s11
	s_branch .LBB0_7
.LBB0_6:                                ;   in Loop: Header=BB0_7 Depth=1
	s_mul_i32 s3, s34, s3
	s_mul_hi_u32 s17, s34, s2
	s_add_i32 s3, s17, s3
	s_mul_i32 s17, s35, s2
	s_add_i32 s3, s3, s17
	s_mul_i32 s17, s0, s35
	s_mul_hi_u32 s19, s0, s34
	s_load_dwordx2 s[36:37], s[26:27], 0x0
	s_add_i32 s17, s19, s17
	s_mul_i32 s19, s1, s34
	s_add_i32 s17, s17, s19
	s_mul_i32 s19, s0, s34
	s_sub_u32 s19, s24, s19
	s_subb_u32 s17, s25, s17
	s_waitcnt lgkmcnt(0)
	s_mul_i32 s17, s36, s17
	s_mul_hi_u32 s24, s36, s19
	s_add_i32 s17, s24, s17
	s_mul_i32 s24, s37, s19
	s_add_i32 s17, s17, s24
	s_mul_i32 s19, s36, s19
	s_add_u32 s28, s28, 1
	v_mov_b32_e32 v5, s17
	v_add_co_u32_e32 v3, vcc, s19, v3
	s_addc_u32 s29, s29, 0
	v_addc_co_u32_e32 v4, vcc, v5, v4, vcc
	s_add_u32 s26, s26, 8
	s_addc_u32 s27, s27, 0
	v_cmp_ge_u64_e32 vcc, s[28:29], v[1:2]
	s_add_u32 s12, s12, 8
	s_mul_i32 s2, s34, s2
	s_addc_u32 s13, s13, 0
	s_mov_b64 s[24:25], s[0:1]
	s_cbranch_vccnz .LBB0_12
.LBB0_7:                                ; =>This Inner Loop Header: Depth=1
	s_load_dwordx2 s[34:35], s[12:13], 0x0
	s_waitcnt lgkmcnt(0)
	s_or_b64 s[0:1], s[24:25], s[34:35]
	s_mov_b32 s31, s1
	s_cmp_lg_u64 s[30:31], 0
	s_cbranch_scc0 .LBB0_9
; %bb.8:                                ;   in Loop: Header=BB0_7 Depth=1
	v_cvt_f32_u32_e32 v5, s34
	v_cvt_f32_u32_e32 v6, s35
	s_sub_u32 s0, 0, s34
	s_subb_u32 s1, 0, s35
	v_mac_f32_e32 v5, 0x4f800000, v6
	v_rcp_f32_e32 v5, v5
	v_mul_f32_e32 v5, 0x5f7ffffc, v5
	v_mul_f32_e32 v6, 0x2f800000, v5
	v_trunc_f32_e32 v6, v6
	v_mac_f32_e32 v5, 0xcf800000, v6
	v_cvt_u32_f32_e32 v6, v6
	v_cvt_u32_f32_e32 v5, v5
	v_readfirstlane_b32 s17, v6
	v_readfirstlane_b32 s19, v5
	s_mul_i32 s31, s0, s17
	s_mul_hi_u32 s36, s0, s19
	s_mul_i32 s33, s1, s19
	s_add_i32 s31, s36, s31
	s_mul_i32 s37, s0, s19
	s_add_i32 s31, s31, s33
	s_mul_hi_u32 s33, s19, s31
	s_mul_i32 s36, s19, s31
	s_mul_hi_u32 s19, s19, s37
	s_add_u32 s19, s19, s36
	s_addc_u32 s33, 0, s33
	s_mul_hi_u32 s38, s17, s37
	s_mul_i32 s37, s17, s37
	s_add_u32 s19, s19, s37
	s_mul_hi_u32 s36, s17, s31
	s_addc_u32 s19, s33, s38
	s_addc_u32 s33, s36, 0
	s_mul_i32 s31, s17, s31
	s_add_u32 s19, s19, s31
	s_addc_u32 s31, 0, s33
	v_add_co_u32_e32 v5, vcc, s19, v5
	s_cmp_lg_u64 vcc, 0
	s_addc_u32 s17, s17, s31
	v_readfirstlane_b32 s31, v5
	s_mul_i32 s19, s0, s17
	s_mul_hi_u32 s33, s0, s31
	s_add_i32 s19, s33, s19
	s_mul_i32 s1, s1, s31
	s_add_i32 s19, s19, s1
	s_mul_i32 s0, s0, s31
	s_mul_hi_u32 s33, s17, s0
	s_mul_i32 s36, s17, s0
	s_mul_i32 s38, s31, s19
	s_mul_hi_u32 s0, s31, s0
	s_mul_hi_u32 s37, s31, s19
	s_add_u32 s0, s0, s38
	s_addc_u32 s31, 0, s37
	s_add_u32 s0, s0, s36
	s_mul_hi_u32 s1, s17, s19
	s_addc_u32 s0, s31, s33
	s_addc_u32 s1, s1, 0
	s_mul_i32 s19, s17, s19
	s_add_u32 s0, s0, s19
	s_addc_u32 s1, 0, s1
	v_add_co_u32_e32 v5, vcc, s0, v5
	s_cmp_lg_u64 vcc, 0
	s_addc_u32 s0, s17, s1
	v_readfirstlane_b32 s19, v5
	s_mul_i32 s17, s24, s0
	s_mul_hi_u32 s31, s24, s19
	s_mul_hi_u32 s1, s24, s0
	s_add_u32 s17, s31, s17
	s_addc_u32 s1, 0, s1
	s_mul_hi_u32 s33, s25, s19
	s_mul_i32 s19, s25, s19
	s_add_u32 s17, s17, s19
	s_mul_hi_u32 s31, s25, s0
	s_addc_u32 s1, s1, s33
	s_addc_u32 s17, s31, 0
	s_mul_i32 s0, s25, s0
	s_add_u32 s19, s1, s0
	s_addc_u32 s17, 0, s17
	s_mul_i32 s0, s34, s17
	s_mul_hi_u32 s1, s34, s19
	s_add_i32 s0, s1, s0
	s_mul_i32 s1, s35, s19
	s_add_i32 s31, s0, s1
	s_mul_i32 s1, s34, s19
	v_mov_b32_e32 v5, s1
	s_sub_i32 s0, s25, s31
	v_sub_co_u32_e32 v5, vcc, s24, v5
	s_cmp_lg_u64 vcc, 0
	s_subb_u32 s33, s0, s35
	v_subrev_co_u32_e64 v6, s[0:1], s34, v5
	s_cmp_lg_u64 s[0:1], 0
	s_subb_u32 s0, s33, 0
	s_cmp_ge_u32 s0, s35
	v_readfirstlane_b32 s33, v6
	s_cselect_b32 s1, -1, 0
	s_cmp_ge_u32 s33, s34
	s_cselect_b32 s33, -1, 0
	s_cmp_eq_u32 s0, s35
	s_cselect_b32 s0, s33, s1
	s_add_u32 s1, s19, 1
	s_addc_u32 s33, s17, 0
	s_add_u32 s36, s19, 2
	s_addc_u32 s37, s17, 0
	s_cmp_lg_u32 s0, 0
	s_cselect_b32 s0, s36, s1
	s_cselect_b32 s1, s37, s33
	s_cmp_lg_u64 vcc, 0
	s_subb_u32 s31, s25, s31
	s_cmp_ge_u32 s31, s35
	v_readfirstlane_b32 s36, v5
	s_cselect_b32 s33, -1, 0
	s_cmp_ge_u32 s36, s34
	s_cselect_b32 s36, -1, 0
	s_cmp_eq_u32 s31, s35
	s_cselect_b32 s31, s36, s33
	s_cmp_lg_u32 s31, 0
	s_cselect_b32 s1, s1, s17
	s_cselect_b32 s0, s0, s19
	s_cbranch_execnz .LBB0_6
	s_branch .LBB0_10
.LBB0_9:                                ;   in Loop: Header=BB0_7 Depth=1
                                        ; implicit-def: $sgpr0_sgpr1
.LBB0_10:                               ;   in Loop: Header=BB0_7 Depth=1
	v_cvt_f32_u32_e32 v5, s34
	s_sub_i32 s0, 0, s34
	v_rcp_iflag_f32_e32 v5, v5
	v_mul_f32_e32 v5, 0x4f7ffffe, v5
	v_cvt_u32_f32_e32 v5, v5
	v_readfirstlane_b32 s1, v5
	s_mul_i32 s0, s0, s1
	s_mul_hi_u32 s0, s1, s0
	s_add_i32 s1, s1, s0
	s_mul_hi_u32 s0, s24, s1
	s_mul_i32 s17, s0, s34
	s_sub_i32 s17, s24, s17
	s_add_i32 s1, s0, 1
	s_sub_i32 s19, s17, s34
	s_cmp_ge_u32 s17, s34
	s_cselect_b32 s0, s1, s0
	s_cselect_b32 s17, s19, s17
	s_add_i32 s1, s0, 1
	s_cmp_ge_u32 s17, s34
	s_cselect_b32 s0, s1, s0
	s_mov_b32 s1, s30
	s_branch .LBB0_6
.LBB0_11:
	v_mov_b32_e32 v1, s24
	v_mov_b32_e32 v2, s25
	s_branch .LBB0_14
.LBB0_12:
	v_mov_b32_e32 v1, s2
	v_mov_b32_e32 v2, s3
	v_cmp_lt_u64_e32 vcc, s[6:7], v[1:2]
	v_mov_b32_e32 v1, 0
	v_mov_b32_e32 v2, 0
	s_cbranch_vccnz .LBB0_14
; %bb.13:
	v_cvt_f32_u32_e32 v1, s2
	s_sub_i32 s0, 0, s2
	v_rcp_iflag_f32_e32 v1, v1
	v_mul_f32_e32 v1, 0x4f7ffffe, v1
	v_cvt_u32_f32_e32 v1, v1
	v_mul_lo_u32 v2, s0, v1
	v_mul_hi_u32 v2, v1, v2
	v_add_u32_e32 v1, v1, v2
	v_mul_hi_u32 v1, s6, v1
	v_mul_lo_u32 v2, v1, s2
	v_add_u32_e32 v4, 1, v1
	v_sub_u32_e32 v2, s6, v2
	v_subrev_u32_e32 v5, s2, v2
	v_cmp_le_u32_e32 vcc, s2, v2
	v_cndmask_b32_e32 v2, v2, v5, vcc
	v_cndmask_b32_e32 v1, v1, v4, vcc
	v_add_u32_e32 v4, 1, v1
	v_cmp_le_u32_e32 vcc, s2, v2
	v_cndmask_b32_e32 v1, v1, v4, vcc
.LBB0_14:
	s_lshl_b64 s[0:1], s[10:11], 3
	s_add_u32 s0, s14, s0
	s_addc_u32 s1, s15, s1
	s_load_dword s0, s[0:1], 0x0
	v_mov_b32_e32 v4, s22
	v_and_b32_e32 v11, 7, v0
	v_mov_b32_e32 v5, s23
	s_movk_i32 s2, 0xf0
	s_waitcnt lgkmcnt(0)
	v_mul_lo_u32 v1, s0, v1
	s_add_u32 s0, s4, 8
	s_addc_u32 s1, s5, 0
	v_mov_b32_e32 v16, s5
	v_or_b32_e32 v15, s4, v11
	v_cmp_le_u64_e32 vcc, s[0:1], v[4:5]
	v_mad_u64_u32 v[13:14], s[0:1], s18, v11, 0
	v_cmp_gt_u32_e64 s[2:3], s2, v0
	v_add_u32_e32 v1, v1, v3
	v_lshrrev_b32_e32 v17, 3, v0
	s_movk_i32 s0, 0xef
	v_cndmask_b32_e64 v3, 0, 1, s[2:3]
	v_cmp_gt_u64_e64 s[2:3], s[22:23], v[15:16]
	v_mul_lo_u32 v2, s16, v17
	v_cmp_lt_u32_e64 s[0:1], s0, v0
	v_cndmask_b32_e64 v16, 0, 1, s[2:3]
	s_or_b64 s[2:3], s[0:1], vcc
	v_cndmask_b32_e64 v3, v16, v3, s[2:3]
	v_and_b32_e32 v3, 1, v3
	v_add_lshl_u32 v2, v13, v2, 3
	v_lshlrev_b32_e32 v14, 3, v1
	v_cmp_eq_u32_e64 s[2:3], 1, v3
	v_add_u32_e32 v1, 30, v17
	v_cndmask_b32_e64 v12, -1, v2, s[2:3]
	v_mul_lo_u32 v1, s16, v1
	v_add_u32_e32 v2, 60, v17
	v_mul_lo_u32 v2, s16, v2
	v_add_u32_e32 v3, 0x78, v17
	v_add_lshl_u32 v1, v13, v1, 3
	v_cndmask_b32_e64 v18, -1, v1, s[2:3]
	v_add_lshl_u32 v1, v13, v2, 3
	v_add_u32_e32 v2, 0x5a, v17
	v_mul_lo_u32 v2, s16, v2
	v_mul_lo_u32 v3, s16, v3
	v_cndmask_b32_e64 v19, -1, v1, s[2:3]
	s_mov_b32 s11, 0x20000
	v_add_lshl_u32 v1, v13, v2, 3
	v_cndmask_b32_e64 v22, -1, v1, s[2:3]
	v_add_lshl_u32 v1, v13, v3, 3
	v_add_u32_e32 v2, 0x96, v17
	v_add_u32_e32 v3, 0xb4, v17
	v_mul_lo_u32 v2, s16, v2
	v_mul_lo_u32 v3, s16, v3
	s_mov_b32 s10, -2
	v_readfirstlane_b32 s4, v14
	v_cndmask_b32_e64 v1, -1, v1, s[2:3]
	v_add_lshl_u32 v2, v13, v2, 3
	v_add_lshl_u32 v3, v13, v3, 3
	v_cndmask_b32_e64 v2, -1, v2, s[2:3]
	v_cndmask_b32_e64 v5, -1, v3, s[2:3]
	buffer_load_dwordx2 v[3:4], v1, s[8:11], s4 offen
	buffer_load_dwordx2 v[23:24], v2, s[8:11], s4 offen
	;; [unrolled: 1-line block ×3, first 2 shown]
	v_add_u32_e32 v1, 0xd2, v17
	v_mul_lo_u32 v25, s16, v1
	buffer_load_dwordx2 v[5:6], v12, s[8:11], s4 offen
	buffer_load_dwordx2 v[1:2], v18, s[8:11], s4 offen
	buffer_load_dwordx2 v[9:10], v19, s[8:11], s4 offen
	buffer_load_dwordx2 v[7:8], v22, s[8:11], s4 offen
	v_add_lshl_u32 v12, v13, v25, 3
	v_cndmask_b32_e64 v12, -1, v12, s[2:3]
	buffer_load_dwordx2 v[28:29], v12, s[8:11], s4 offen
	v_lshlrev_b32_e32 v12, 6, v17
	s_waitcnt vmcnt(4)
	v_sub_f32_e32 v19, v5, v3
	v_sub_f32_e32 v22, v6, v4
	s_waitcnt vmcnt(2)
	v_sub_f32_e32 v20, v9, v20
	v_sub_f32_e32 v25, v10, v21
	;; [unrolled: 1-line block ×4, first 2 shown]
	v_add_f32_e32 v30, v22, v20
	v_fma_f32 v27, v22, 2.0, -v30
	s_waitcnt vmcnt(0)
	v_sub_f32_e32 v28, v7, v28
	v_sub_f32_e32 v23, v8, v29
	;; [unrolled: 1-line block ×3, first 2 shown]
	v_fma_f32 v24, v19, 2.0, -v29
	v_sub_f32_e32 v31, v26, v23
	v_add_f32_e32 v32, v21, v28
	v_mov_b32_e32 v3, v24
	v_mov_b32_e32 v4, v27
	v_fma_f32 v18, v26, 2.0, -v31
	v_fma_f32 v33, v21, 2.0, -v32
	v_fmac_f32_e32 v3, 0xbf3504f3, v18
	v_fmac_f32_e32 v4, 0xbf3504f3, v33
	s_and_saveexec_b64 s[2:3], s[0:1]
	s_xor_b64 s[0:1], exec, s[2:3]
; %bb.15:
	v_lshlrev_b32_e32 v12, 6, v17
                                        ; implicit-def: $vgpr19
                                        ; implicit-def: $vgpr22
                                        ; implicit-def: $vgpr20
                                        ; implicit-def: $vgpr25
                                        ; implicit-def: $vgpr26
                                        ; implicit-def: $vgpr21
                                        ; implicit-def: $vgpr28
                                        ; implicit-def: $vgpr23
                                        ; implicit-def: $vgpr29
                                        ; implicit-def: $vgpr30
                                        ; implicit-def: $vgpr24
                                        ; implicit-def: $vgpr27
                                        ; implicit-def: $vgpr31
                                        ; implicit-def: $vgpr32
                                        ; implicit-def: $vgpr5_vgpr6
                                        ; implicit-def: $vgpr1_vgpr2
                                        ; implicit-def: $vgpr9_vgpr10
                                        ; implicit-def: $vgpr7_vgpr8
; %bb.16:
	s_or_saveexec_b64 s[0:1], s[0:1]
	v_fmac_f32_e32 v3, 0xbf3504f3, v33
	v_fmac_f32_e32 v4, 0x3f3504f3, v18
	v_lshlrev_b32_e32 v18, 3, v11
	s_xor_b64 exec, exec, s[0:1]
	s_cbranch_execz .LBB0_18
; %bb.17:
	v_fma_f32 v11, v6, 2.0, -v22
	v_fma_f32 v6, v10, 2.0, -v25
	v_fma_f32 v25, v1, 2.0, -v26
	v_fma_f32 v1, v7, 2.0, -v28
	v_sub_f32_e32 v7, v25, v1
	v_fma_f32 v19, v5, 2.0, -v19
	v_fma_f32 v1, v9, 2.0, -v20
	v_sub_f32_e32 v26, v19, v1
	v_fma_f32 v20, v2, 2.0, -v21
	v_fma_f32 v1, v8, 2.0, -v23
	v_sub_f32_e32 v22, v11, v6
	v_sub_f32_e32 v8, v20, v1
	;; [unrolled: 1-line block ×3, first 2 shown]
	v_fma_f32 v11, v11, 2.0, -v22
	v_fma_f32 v8, v20, 2.0, -v8
	v_sub_f32_e32 v8, v11, v8
	v_add_f32_e32 v6, v22, v7
	v_fma_f32 v20, v11, 2.0, -v8
	v_fma_f32 v11, v19, 2.0, -v26
	;; [unrolled: 1-line block ×3, first 2 shown]
	v_mov_b32_e32 v34, v30
	v_mov_b32_e32 v33, v29
	v_sub_f32_e32 v7, v11, v7
	v_fmac_f32_e32 v34, 0x3f3504f3, v32
	v_fmac_f32_e32 v33, 0x3f3504f3, v31
	v_fma_f32 v19, v11, 2.0, -v7
	v_lshlrev_b32_e32 v11, 9, v17
	v_fmac_f32_e32 v34, 0x3f3504f3, v31
	v_fmac_f32_e32 v33, 0xbf3504f3, v32
	v_fma_f32 v2, v27, 2.0, -v4
	v_fma_f32 v1, v24, 2.0, -v3
	v_add3_u32 v11, 0, v11, v18
	v_fma_f32 v30, v30, 2.0, -v34
	v_fma_f32 v29, v29, 2.0, -v33
	;; [unrolled: 1-line block ×4, first 2 shown]
	ds_write2_b64 v11, v[19:20], v[1:2] offset1:8
	ds_write2_b64 v11, v[9:10], v[29:30] offset0:16 offset1:24
	ds_write2_b64 v11, v[7:8], v[3:4] offset0:32 offset1:40
	;; [unrolled: 1-line block ×3, first 2 shown]
.LBB0_18:
	s_or_b64 exec, exec, s[0:1]
	v_bfe_u32 v32, v0, 3, 3
	v_lshlrev_b32_e32 v1, 5, v32
	s_waitcnt lgkmcnt(0)
	s_barrier
	global_load_dwordx4 v[20:23], v1, s[20:21]
	global_load_dwordx4 v[24:27], v1, s[20:21] offset:16
	v_add3_u32 v19, 0, v12, v18
	ds_read2_b32 v[7:8], v19 offset1:1
	ds_read2st64_b64 v[9:12], v19 offset0:6 offset1:12
	ds_read2st64_b64 v[28:31], v19 offset0:18 offset1:24
	s_movk_i32 s4, 0x140
	v_cmp_gt_u32_e64 s[0:1], s4, v0
	s_waitcnt vmcnt(0) lgkmcnt(0)
	s_barrier
	v_mul_f32_e32 v1, v21, v10
	v_mul_f32_e32 v2, v21, v9
	;; [unrolled: 1-line block ×4, first 2 shown]
	v_fma_f32 v1, v20, v9, -v1
	v_fmac_f32_e32 v2, v20, v10
	v_fma_f32 v5, v22, v11, -v5
	v_mul_f32_e32 v9, v25, v29
	v_mul_f32_e32 v10, v25, v28
	;; [unrolled: 1-line block ×3, first 2 shown]
	v_fmac_f32_e32 v6, v22, v12
	v_mul_f32_e32 v20, v27, v30
	v_fma_f32 v9, v24, v28, -v9
	v_fmac_f32_e32 v10, v24, v29
	v_fma_f32 v21, v26, v30, -v11
	v_add_f32_e32 v11, v1, v7
	v_add_f32_e32 v29, v8, v2
	v_fmac_f32_e32 v20, v26, v31
	v_add_f32_e32 v12, v5, v9
	v_sub_f32_e32 v23, v6, v10
	v_sub_f32_e32 v24, v1, v5
	v_sub_f32_e32 v25, v21, v9
	v_add_f32_e32 v26, v1, v21
	v_sub_f32_e32 v27, v5, v1
	v_add_f32_e32 v30, v6, v10
	v_sub_f32_e32 v33, v5, v9
	;; [unrolled: 2-line block ×3, first 2 shown]
	v_sub_f32_e32 v34, v6, v2
	v_add_f32_e32 v6, v29, v6
	v_sub_f32_e32 v31, v1, v21
	v_fma_f32 v1, -0.5, v12, v7
	v_sub_f32_e32 v12, v20, v10
	v_add_f32_e32 v24, v24, v25
	v_add_f32_e32 v25, v2, v20
	v_fma_f32 v7, -0.5, v26, v7
	v_sub_f32_e32 v26, v10, v20
	v_add_f32_e32 v10, v6, v10
	v_sub_f32_e32 v22, v2, v20
	v_sub_f32_e32 v28, v9, v21
	v_fma_f32 v2, -0.5, v30, v8
	v_fmac_f32_e32 v8, -0.5, v25
	v_add_f32_e32 v10, v10, v20
	v_lshrrev_b32_e32 v20, 6, v0
	v_add_f32_e32 v27, v27, v28
	v_add_f32_e32 v28, v11, v12
	;; [unrolled: 1-line block ×3, first 2 shown]
	v_mov_b32_e32 v11, v1
	v_mov_b32_e32 v5, v7
	;; [unrolled: 1-line block ×4, first 2 shown]
	v_mul_u32_u24_e32 v20, 40, v20
	v_fmac_f32_e32 v1, 0xbf737871, v22
	v_fmac_f32_e32 v7, 0x3f737871, v23
	;; [unrolled: 1-line block ×8, first 2 shown]
	v_or_b32_e32 v20, v20, v32
	v_add_f32_e32 v25, v34, v26
	v_fmac_f32_e32 v1, 0xbf167918, v23
	v_fmac_f32_e32 v7, 0xbf167918, v22
	;; [unrolled: 1-line block ×8, first 2 shown]
	v_lshlrev_b32_e32 v20, 6, v20
	v_add_f32_e32 v9, v9, v21
	v_fmac_f32_e32 v1, 0x3e9e377a, v24
	v_fmac_f32_e32 v7, 0x3e9e377a, v27
	;; [unrolled: 1-line block ×8, first 2 shown]
	v_add3_u32 v18, 0, v20, v18
	ds_write2st64_b64 v18, v[9:10], v[11:12] offset1:1
	ds_write2st64_b64 v18, v[5:6], v[7:8] offset0:2 offset1:3
	ds_write_b64 v18, v[1:2] offset:2048
	s_waitcnt lgkmcnt(0)
	s_barrier
	s_and_saveexec_b64 s[2:3], s[0:1]
	s_cbranch_execz .LBB0_20
; %bb.19:
	ds_read2st64_b64 v[9:12], v19 offset1:5
	ds_read2st64_b64 v[5:8], v19 offset0:10 offset1:15
	ds_read2st64_b64 v[1:4], v19 offset0:20 offset1:25
.LBB0_20:
	s_or_b64 exec, exec, s[2:3]
	s_mov_b32 s0, 0x6666667
	v_mul_hi_u32 v18, v17, s0
	s_add_i32 s0, 0, 0x3c00
	s_movk_i32 s2, 0x13f
	v_cmp_lt_u32_e64 s[2:3], s2, v0
	v_mul_u32_u24_e32 v18, 40, v18
	v_sub_u32_e32 v17, v17, v18
	v_mul_u32_u24_e32 v18, 5, v17
	v_lshlrev_b32_e32 v28, 3, v18
	global_load_dwordx2 v[26:27], v28, s[20:21] offset:288
	global_load_dwordx4 v[18:21], v28, s[20:21] offset:272
	global_load_dwordx4 v[22:25], v28, s[20:21] offset:256
	s_or_b64 vcc, s[2:3], vcc
	s_waitcnt vmcnt(0) lgkmcnt(2)
	v_mul_f32_e32 v28, v12, v23
	v_fma_f32 v28, v11, v22, -v28
	v_mul_f32_e32 v11, v11, v23
	v_fmac_f32_e32 v11, v12, v22
	s_waitcnt lgkmcnt(1)
	v_mul_f32_e32 v12, v6, v25
	v_fma_f32 v12, v5, v24, -v12
	v_mul_f32_e32 v5, v5, v25
	v_fmac_f32_e32 v5, v6, v24
	v_mul_f32_e32 v6, v8, v19
	v_fma_f32 v6, v7, v18, -v6
	v_mul_f32_e32 v7, v7, v19
	v_fmac_f32_e32 v7, v8, v18
	s_waitcnt lgkmcnt(0)
	v_mul_f32_e32 v8, v2, v21
	v_fma_f32 v8, v1, v20, -v8
	v_mul_f32_e32 v1, v1, v21
	v_fmac_f32_e32 v1, v2, v20
	v_mul_f32_e32 v2, v4, v27
	v_fma_f32 v2, v3, v26, -v2
	v_mul_f32_e32 v3, v3, v27
	v_fmac_f32_e32 v3, v4, v26
	v_add_f32_e32 v4, v9, v12
	v_add_f32_e32 v18, v4, v8
	;; [unrolled: 1-line block ×3, first 2 shown]
	v_fmac_f32_e32 v9, -0.5, v4
	v_sub_f32_e32 v4, v5, v1
	v_mov_b32_e32 v19, v9
	v_fmac_f32_e32 v19, 0x3f5db3d7, v4
	v_fmac_f32_e32 v9, 0xbf5db3d7, v4
	v_add_f32_e32 v4, v10, v5
	v_add_f32_e32 v21, v4, v1
	;; [unrolled: 1-line block ×3, first 2 shown]
	v_fmac_f32_e32 v10, -0.5, v1
	v_sub_f32_e32 v1, v12, v8
	v_mov_b32_e32 v5, v10
	v_add_f32_e32 v4, v6, v2
	v_fmac_f32_e32 v5, 0xbf5db3d7, v1
	v_fmac_f32_e32 v10, 0x3f5db3d7, v1
	v_add_f32_e32 v1, v28, v6
	v_fmac_f32_e32 v28, -0.5, v4
	v_sub_f32_e32 v4, v7, v3
	v_mov_b32_e32 v12, v28
	v_fmac_f32_e32 v12, 0x3f5db3d7, v4
	v_fmac_f32_e32 v28, 0xbf5db3d7, v4
	v_add_f32_e32 v4, v11, v7
	v_add_f32_e32 v22, v4, v3
	;; [unrolled: 1-line block ×3, first 2 shown]
	v_fmac_f32_e32 v11, -0.5, v3
	v_add_f32_e32 v1, v1, v2
	v_sub_f32_e32 v2, v6, v2
	v_mov_b32_e32 v3, v11
	v_fmac_f32_e32 v3, 0xbf5db3d7, v2
	v_mul_f32_e32 v6, 0x3f5db3d7, v3
	v_fmac_f32_e32 v11, 0x3f5db3d7, v2
	v_fmac_f32_e32 v6, 0.5, v12
	v_mul_f32_e32 v12, 0xbf5db3d7, v12
	v_fmac_f32_e32 v12, 0.5, v3
	v_mul_f32_e32 v3, -0.5, v11
	v_fmac_f32_e32 v3, 0xbf5db3d7, v28
	v_add_f32_e32 v2, v18, v1
	v_add_f32_e32 v4, v19, v6
	;; [unrolled: 1-line block ×4, first 2 shown]
	v_sub_f32_e32 v20, v18, v1
	v_sub_f32_e32 v18, v19, v6
	v_sub_f32_e32 v19, v5, v12
	v_sub_f32_e32 v12, v10, v3
	v_mul_lo_u32 v1, v17, v15
	v_mul_lo_u32 v10, v15, 40
	v_mul_f32_e32 v7, -0.5, v28
	v_fmac_f32_e32 v7, 0x3f5db3d7, v11
	v_add_f32_e32 v8, v9, v7
	v_add_u32_e32 v29, v1, v10
	v_add_u32_e32 v30, v29, v10
	v_sub_f32_e32 v11, v9, v7
	v_add_u32_e32 v9, v30, v10
	v_add_u32_e32 v15, v9, v10
	v_and_b32_e32 v3, 31, v1
	v_and_b32_e32 v5, 31, v15
	v_lshl_add_u32 v3, v3, 3, 0
	v_lshl_add_u32 v7, v5, 3, 0
	ds_read_b32 v3, v3 offset:15360
	ds_read_b64 v[5:6], v7 offset:15360
	ds_read_b32 v23, v7 offset:15364
	v_lshrrev_b32_e32 v7, 2, v1
	v_and_b32_e32 v7, 0xf8, v7
	v_add_u32_e32 v7, s0, v7
	ds_read_b64 v[27:28], v7 offset:256
	v_lshrrev_b32_e32 v1, 7, v1
	v_and_b32_e32 v1, 0xf8, v1
	v_add_f32_e32 v24, v21, v22
	v_sub_f32_e32 v21, v21, v22
	s_waitcnt lgkmcnt(0)
	v_mul_f32_e32 v7, v6, v28
	v_fma_f32 v22, v3, v27, -v7
	v_mul_f32_e32 v3, v3, v28
	v_add_u32_e32 v1, s0, v1
	v_fmac_f32_e32 v3, v6, v27
	ds_read_b64 v[6:7], v1 offset:512
	s_waitcnt lgkmcnt(0)
	v_mul_f32_e32 v1, v3, v7
	v_mul_f32_e32 v7, v22, v7
	v_fma_f32 v27, v6, v22, -v1
	v_fmac_f32_e32 v7, v6, v3
	v_add_u32_e32 v22, v15, v10
	v_mul_f32_e32 v1, v24, v7
	v_and_b32_e32 v3, 31, v29
	v_and_b32_e32 v6, 31, v22
	v_fma_f32 v1, v2, v27, -v1
	v_mul_f32_e32 v2, v2, v7
	v_lshl_add_u32 v3, v3, 3, 0
	v_lshl_add_u32 v10, v6, 3, 0
	v_fmac_f32_e32 v2, v24, v27
	ds_read_b32 v3, v3 offset:15360
	ds_read_b64 v[6:7], v10 offset:15360
	ds_read_b32 v24, v10 offset:15364
	v_lshrrev_b32_e32 v10, 2, v29
	v_and_b32_e32 v10, 0xf8, v10
	v_add_u32_e32 v10, s0, v10
	ds_read_b64 v[27:28], v10 offset:256
	s_waitcnt lgkmcnt(0)
	v_mul_f32_e32 v10, v7, v28
	v_fma_f32 v10, v3, v27, -v10
	v_mul_f32_e32 v3, v3, v28
	v_fmac_f32_e32 v3, v7, v27
	v_lshrrev_b32_e32 v7, 7, v29
	v_and_b32_e32 v7, 0xf8, v7
	v_add_u32_e32 v7, s0, v7
	ds_read_b64 v[27:28], v7 offset:512
	s_waitcnt lgkmcnt(0)
	v_mul_f32_e32 v7, v3, v28
	v_fma_f32 v7, v27, v10, -v7
	v_mul_f32_e32 v10, v10, v28
	v_fmac_f32_e32 v10, v27, v3
	v_mul_f32_e32 v3, v26, v10
	v_fma_f32 v3, v4, v7, -v3
	v_mul_f32_e32 v4, v4, v10
	v_fmac_f32_e32 v4, v26, v7
	v_and_b32_e32 v7, 31, v30
	v_lshl_add_u32 v7, v7, 3, 0
	ds_read_b64 v[26:27], v7 offset:15360
	v_lshrrev_b32_e32 v7, 2, v30
	v_and_b32_e32 v7, 0xf8, v7
	v_add_u32_e32 v7, s0, v7
	ds_read_b64 v[28:29], v7 offset:256
	s_waitcnt lgkmcnt(0)
	v_mul_f32_e32 v7, v27, v29
	v_fma_f32 v7, v26, v28, -v7
	v_mul_f32_e32 v10, v26, v29
	v_lshrrev_b32_e32 v26, 7, v30
	v_and_b32_e32 v26, 0xf8, v26
	v_add_u32_e32 v26, s0, v26
	v_fmac_f32_e32 v10, v27, v28
	ds_read_b64 v[26:27], v26 offset:512
	s_waitcnt lgkmcnt(0)
	v_mul_f32_e32 v28, v10, v27
	v_mul_f32_e32 v27, v7, v27
	v_fmac_f32_e32 v27, v26, v10
	v_fma_f32 v28, v26, v7, -v28
	v_mul_f32_e32 v7, v25, v27
	v_and_b32_e32 v10, 31, v9
	v_fma_f32 v7, v8, v28, -v7
	v_mul_f32_e32 v8, v8, v27
	v_lshl_add_u32 v10, v10, 3, 0
	v_fmac_f32_e32 v8, v25, v28
	ds_read_b64 v[27:28], v10 offset:15360
	v_lshrrev_b32_e32 v10, 2, v9
	v_and_b32_e32 v10, 0xf8, v10
	v_add_u32_e32 v10, s0, v10
	ds_read_b64 v[29:30], v10 offset:256
	v_lshrrev_b32_e32 v9, 7, v9
	v_and_b32_e32 v9, 0xf8, v9
	v_add_u32_e32 v9, s0, v9
	s_waitcnt lgkmcnt(0)
	v_mul_f32_e32 v10, v28, v30
	v_fma_f32 v26, v27, v29, -v10
	ds_read_b64 v[9:10], v9 offset:512
	v_mul_f32_e32 v25, v27, v30
	v_fmac_f32_e32 v25, v28, v29
	s_waitcnt lgkmcnt(0)
	v_mul_f32_e32 v27, v25, v10
	v_mul_f32_e32 v10, v26, v10
	v_fmac_f32_e32 v10, v9, v25
	v_fma_f32 v27, v9, v26, -v27
	v_mul_f32_e32 v9, v21, v10
	v_fma_f32 v9, v20, v27, -v9
	v_mul_f32_e32 v10, v20, v10
	v_lshrrev_b32_e32 v20, 2, v15
	v_and_b32_e32 v20, 0xf8, v20
	v_add_u32_e32 v20, s0, v20
	v_fmac_f32_e32 v10, v21, v27
	ds_read_b64 v[20:21], v20 offset:256
	v_lshrrev_b32_e32 v15, 7, v15
	v_and_b32_e32 v15, 0xf8, v15
	v_add_u32_e32 v15, s0, v15
	s_waitcnt lgkmcnt(0)
	v_mul_f32_e32 v25, v23, v21
	v_fma_f32 v25, v5, v20, -v25
	v_mul_f32_e32 v5, v5, v21
	v_fmac_f32_e32 v5, v23, v20
	ds_read_b64 v[20:21], v15 offset:512
	s_waitcnt lgkmcnt(0)
	v_mul_f32_e32 v15, v5, v21
	v_mul_f32_e32 v21, v25, v21
	v_fmac_f32_e32 v21, v20, v5
	v_fma_f32 v15, v20, v25, -v15
	v_mul_f32_e32 v5, v19, v21
	v_fma_f32 v20, v18, v15, -v5
	v_lshrrev_b32_e32 v5, 2, v22
	v_and_b32_e32 v5, 0xf8, v5
	v_mul_f32_e32 v21, v18, v21
	v_add_u32_e32 v5, s0, v5
	v_fmac_f32_e32 v21, v19, v15
	ds_read_b64 v[18:19], v5 offset:256
	s_waitcnt lgkmcnt(0)
	v_mul_f32_e32 v5, v24, v19
	v_fma_f32 v15, v6, v18, -v5
	v_lshrrev_b32_e32 v5, 7, v22
	v_and_b32_e32 v5, 0xf8, v5
	v_add_u32_e32 v5, s0, v5
	v_mul_f32_e32 v19, v6, v19
	ds_read_b64 v[5:6], v5 offset:512
	v_fmac_f32_e32 v19, v24, v18
	s_movk_i32 s0, 0xf0
	s_waitcnt lgkmcnt(0)
	v_mul_f32_e32 v18, v19, v6
	v_mul_f32_e32 v6, v15, v6
	v_fmac_f32_e32 v6, v5, v19
	v_fma_f32 v18, v5, v15, -v18
	v_mul_f32_e32 v5, v12, v6
	v_fma_f32 v5, v11, v18, -v5
	v_mul_f32_e32 v6, v11, v6
	v_mul_hi_u32_u24_e32 v11, 0xcccccd, v0
	v_mad_u32_u24 v11, v11, s0, v17
	v_fmac_f32_e32 v6, v12, v18
	v_mul_lo_u32 v12, s16, v11
	v_cmp_gt_u32_e64 s[0:1], s4, v0
	v_cndmask_b32_e64 v0, 0, 1, s[0:1]
	v_cndmask_b32_e32 v0, v16, v0, vcc
	v_and_b32_e32 v0, 1, v0
	v_cmp_eq_u32_e32 vcc, 1, v0
	v_add_lshl_u32 v0, v13, v12, 3
	v_cndmask_b32_e32 v0, -1, v0, vcc
	v_readfirstlane_b32 s0, v14
	s_nop 4
	buffer_store_dwordx2 v[1:2], v0, s[8:11], s0 offen
	v_add_u32_e32 v0, 40, v11
	v_mul_lo_u32 v0, s16, v0
	v_add_lshl_u32 v0, v13, v0, 3
	v_cndmask_b32_e32 v0, -1, v0, vcc
	buffer_store_dwordx2 v[3:4], v0, s[8:11], s0 offen
	v_add_u32_e32 v0, 0x50, v11
	v_mul_lo_u32 v0, s16, v0
	v_add_lshl_u32 v0, v13, v0, 3
	v_cndmask_b32_e32 v0, -1, v0, vcc
	;; [unrolled: 5-line block ×5, first 2 shown]
	buffer_store_dwordx2 v[5:6], v0, s[8:11], s0 offen
	s_endpgm
	.section	.rodata,"a",@progbits
	.p2align	6, 0x0
	.amdhsa_kernel fft_rtc_fwd_len240_factors_8_5_6_wgs_384_tpt_48_sp_ip_CI_sbcc_twdbase5_3step_dirReg_intrinsicReadWrite
		.amdhsa_group_segment_fixed_size 0
		.amdhsa_private_segment_fixed_size 0
		.amdhsa_kernarg_size 96
		.amdhsa_user_sgpr_count 6
		.amdhsa_user_sgpr_private_segment_buffer 1
		.amdhsa_user_sgpr_dispatch_ptr 0
		.amdhsa_user_sgpr_queue_ptr 0
		.amdhsa_user_sgpr_kernarg_segment_ptr 1
		.amdhsa_user_sgpr_dispatch_id 0
		.amdhsa_user_sgpr_flat_scratch_init 0
		.amdhsa_user_sgpr_private_segment_size 0
		.amdhsa_uses_dynamic_stack 0
		.amdhsa_system_sgpr_private_segment_wavefront_offset 0
		.amdhsa_system_sgpr_workgroup_id_x 1
		.amdhsa_system_sgpr_workgroup_id_y 0
		.amdhsa_system_sgpr_workgroup_id_z 0
		.amdhsa_system_sgpr_workgroup_info 0
		.amdhsa_system_vgpr_workitem_id 0
		.amdhsa_next_free_vgpr 35
		.amdhsa_next_free_sgpr 39
		.amdhsa_reserve_vcc 1
		.amdhsa_reserve_flat_scratch 0
		.amdhsa_float_round_mode_32 0
		.amdhsa_float_round_mode_16_64 0
		.amdhsa_float_denorm_mode_32 3
		.amdhsa_float_denorm_mode_16_64 3
		.amdhsa_dx10_clamp 1
		.amdhsa_ieee_mode 1
		.amdhsa_fp16_overflow 0
		.amdhsa_exception_fp_ieee_invalid_op 0
		.amdhsa_exception_fp_denorm_src 0
		.amdhsa_exception_fp_ieee_div_zero 0
		.amdhsa_exception_fp_ieee_overflow 0
		.amdhsa_exception_fp_ieee_underflow 0
		.amdhsa_exception_fp_ieee_inexact 0
		.amdhsa_exception_int_div_zero 0
	.end_amdhsa_kernel
	.text
.Lfunc_end0:
	.size	fft_rtc_fwd_len240_factors_8_5_6_wgs_384_tpt_48_sp_ip_CI_sbcc_twdbase5_3step_dirReg_intrinsicReadWrite, .Lfunc_end0-fft_rtc_fwd_len240_factors_8_5_6_wgs_384_tpt_48_sp_ip_CI_sbcc_twdbase5_3step_dirReg_intrinsicReadWrite
                                        ; -- End function
	.section	.AMDGPU.csdata,"",@progbits
; Kernel info:
; codeLenInByte = 4352
; NumSgprs: 43
; NumVgprs: 35
; ScratchSize: 0
; MemoryBound: 0
; FloatMode: 240
; IeeeMode: 1
; LDSByteSize: 0 bytes/workgroup (compile time only)
; SGPRBlocks: 5
; VGPRBlocks: 8
; NumSGPRsForWavesPerEU: 43
; NumVGPRsForWavesPerEU: 35
; Occupancy: 7
; WaveLimiterHint : 0
; COMPUTE_PGM_RSRC2:SCRATCH_EN: 0
; COMPUTE_PGM_RSRC2:USER_SGPR: 6
; COMPUTE_PGM_RSRC2:TRAP_HANDLER: 0
; COMPUTE_PGM_RSRC2:TGID_X_EN: 1
; COMPUTE_PGM_RSRC2:TGID_Y_EN: 0
; COMPUTE_PGM_RSRC2:TGID_Z_EN: 0
; COMPUTE_PGM_RSRC2:TIDIG_COMP_CNT: 0
	.type	__hip_cuid_fd5248bf99199ad4,@object ; @__hip_cuid_fd5248bf99199ad4
	.section	.bss,"aw",@nobits
	.globl	__hip_cuid_fd5248bf99199ad4
__hip_cuid_fd5248bf99199ad4:
	.byte	0                               ; 0x0
	.size	__hip_cuid_fd5248bf99199ad4, 1

	.ident	"AMD clang version 19.0.0git (https://github.com/RadeonOpenCompute/llvm-project roc-6.4.0 25133 c7fe45cf4b819c5991fe208aaa96edf142730f1d)"
	.section	".note.GNU-stack","",@progbits
	.addrsig
	.addrsig_sym __hip_cuid_fd5248bf99199ad4
	.amdgpu_metadata
---
amdhsa.kernels:
  - .args:
      - .actual_access:  read_only
        .address_space:  global
        .offset:         0
        .size:           8
        .value_kind:     global_buffer
      - .address_space:  global
        .offset:         8
        .size:           8
        .value_kind:     global_buffer
      - .offset:         16
        .size:           8
        .value_kind:     by_value
      - .actual_access:  read_only
        .address_space:  global
        .offset:         24
        .size:           8
        .value_kind:     global_buffer
      - .actual_access:  read_only
        .address_space:  global
        .offset:         32
        .size:           8
        .value_kind:     global_buffer
      - .offset:         40
        .size:           8
        .value_kind:     by_value
      - .actual_access:  read_only
        .address_space:  global
        .offset:         48
        .size:           8
        .value_kind:     global_buffer
      - .actual_access:  read_only
        .address_space:  global
        .offset:         56
        .size:           8
        .value_kind:     global_buffer
      - .offset:         64
        .size:           4
        .value_kind:     by_value
      - .actual_access:  read_only
        .address_space:  global
        .offset:         72
        .size:           8
        .value_kind:     global_buffer
      - .actual_access:  read_only
        .address_space:  global
        .offset:         80
        .size:           8
        .value_kind:     global_buffer
      - .address_space:  global
        .offset:         88
        .size:           8
        .value_kind:     global_buffer
    .group_segment_fixed_size: 0
    .kernarg_segment_align: 8
    .kernarg_segment_size: 96
    .language:       OpenCL C
    .language_version:
      - 2
      - 0
    .max_flat_workgroup_size: 384
    .name:           fft_rtc_fwd_len240_factors_8_5_6_wgs_384_tpt_48_sp_ip_CI_sbcc_twdbase5_3step_dirReg_intrinsicReadWrite
    .private_segment_fixed_size: 0
    .sgpr_count:     43
    .sgpr_spill_count: 0
    .symbol:         fft_rtc_fwd_len240_factors_8_5_6_wgs_384_tpt_48_sp_ip_CI_sbcc_twdbase5_3step_dirReg_intrinsicReadWrite.kd
    .uniform_work_group_size: 1
    .uses_dynamic_stack: false
    .vgpr_count:     35
    .vgpr_spill_count: 0
    .wavefront_size: 64
amdhsa.target:   amdgcn-amd-amdhsa--gfx906
amdhsa.version:
  - 1
  - 2
...

	.end_amdgpu_metadata
